;; amdgpu-corpus repo=ROCm/rocFFT kind=compiled arch=gfx1030 opt=O3
	.text
	.amdgcn_target "amdgcn-amd-amdhsa--gfx1030"
	.amdhsa_code_object_version 6
	.protected	fft_rtc_back_len2916_factors_6_6_3_3_3_3_wgs_243_tpt_243_halfLds_sp_ip_CI_unitstride_sbrr_R2C_dirReg ; -- Begin function fft_rtc_back_len2916_factors_6_6_3_3_3_3_wgs_243_tpt_243_halfLds_sp_ip_CI_unitstride_sbrr_R2C_dirReg
	.globl	fft_rtc_back_len2916_factors_6_6_3_3_3_3_wgs_243_tpt_243_halfLds_sp_ip_CI_unitstride_sbrr_R2C_dirReg
	.p2align	8
	.type	fft_rtc_back_len2916_factors_6_6_3_3_3_3_wgs_243_tpt_243_halfLds_sp_ip_CI_unitstride_sbrr_R2C_dirReg,@function
fft_rtc_back_len2916_factors_6_6_3_3_3_3_wgs_243_tpt_243_halfLds_sp_ip_CI_unitstride_sbrr_R2C_dirReg: ; @fft_rtc_back_len2916_factors_6_6_3_3_3_3_wgs_243_tpt_243_halfLds_sp_ip_CI_unitstride_sbrr_R2C_dirReg
; %bb.0:
	s_clause 0x2
	s_load_dwordx4 s[8:11], s[4:5], 0x0
	s_load_dwordx2 s[2:3], s[4:5], 0x50
	s_load_dwordx2 s[12:13], s[4:5], 0x18
	v_mul_u32_u24_e32 v1, 0x10e, v0
	v_mov_b32_e32 v3, 0
	v_add_nc_u32_sdwa v5, s6, v1 dst_sel:DWORD dst_unused:UNUSED_PAD src0_sel:DWORD src1_sel:WORD_1
	v_mov_b32_e32 v1, 0
	v_mov_b32_e32 v6, v3
	v_mov_b32_e32 v2, 0
	s_waitcnt lgkmcnt(0)
	v_cmp_lt_u64_e64 s0, s[10:11], 2
	s_and_b32 vcc_lo, exec_lo, s0
	s_cbranch_vccnz .LBB0_8
; %bb.1:
	s_load_dwordx2 s[0:1], s[4:5], 0x10
	v_mov_b32_e32 v1, 0
	s_add_u32 s6, s12, 8
	v_mov_b32_e32 v2, 0
	s_addc_u32 s7, s13, 0
	s_mov_b64 s[16:17], 1
	s_waitcnt lgkmcnt(0)
	s_add_u32 s14, s0, 8
	s_addc_u32 s15, s1, 0
.LBB0_2:                                ; =>This Inner Loop Header: Depth=1
	s_load_dwordx2 s[18:19], s[14:15], 0x0
                                        ; implicit-def: $vgpr8_vgpr9
	s_mov_b32 s0, exec_lo
	s_waitcnt lgkmcnt(0)
	v_or_b32_e32 v4, s19, v6
	v_cmpx_ne_u64_e32 0, v[3:4]
	s_xor_b32 s1, exec_lo, s0
	s_cbranch_execz .LBB0_4
; %bb.3:                                ;   in Loop: Header=BB0_2 Depth=1
	v_cvt_f32_u32_e32 v4, s18
	v_cvt_f32_u32_e32 v7, s19
	s_sub_u32 s0, 0, s18
	s_subb_u32 s20, 0, s19
	v_fmac_f32_e32 v4, 0x4f800000, v7
	v_rcp_f32_e32 v4, v4
	v_mul_f32_e32 v4, 0x5f7ffffc, v4
	v_mul_f32_e32 v7, 0x2f800000, v4
	v_trunc_f32_e32 v7, v7
	v_fmac_f32_e32 v4, 0xcf800000, v7
	v_cvt_u32_f32_e32 v7, v7
	v_cvt_u32_f32_e32 v4, v4
	v_mul_lo_u32 v8, s0, v7
	v_mul_hi_u32 v9, s0, v4
	v_mul_lo_u32 v10, s20, v4
	v_add_nc_u32_e32 v8, v9, v8
	v_mul_lo_u32 v9, s0, v4
	v_add_nc_u32_e32 v8, v8, v10
	v_mul_hi_u32 v10, v4, v9
	v_mul_lo_u32 v11, v4, v8
	v_mul_hi_u32 v12, v4, v8
	v_mul_hi_u32 v13, v7, v9
	v_mul_lo_u32 v9, v7, v9
	v_mul_hi_u32 v14, v7, v8
	v_mul_lo_u32 v8, v7, v8
	v_add_co_u32 v10, vcc_lo, v10, v11
	v_add_co_ci_u32_e32 v11, vcc_lo, 0, v12, vcc_lo
	v_add_co_u32 v9, vcc_lo, v10, v9
	v_add_co_ci_u32_e32 v9, vcc_lo, v11, v13, vcc_lo
	v_add_co_ci_u32_e32 v10, vcc_lo, 0, v14, vcc_lo
	v_add_co_u32 v8, vcc_lo, v9, v8
	v_add_co_ci_u32_e32 v9, vcc_lo, 0, v10, vcc_lo
	v_add_co_u32 v4, vcc_lo, v4, v8
	v_add_co_ci_u32_e32 v7, vcc_lo, v7, v9, vcc_lo
	v_mul_hi_u32 v8, s0, v4
	v_mul_lo_u32 v10, s20, v4
	v_mul_lo_u32 v9, s0, v7
	v_add_nc_u32_e32 v8, v8, v9
	v_mul_lo_u32 v9, s0, v4
	v_add_nc_u32_e32 v8, v8, v10
	v_mul_hi_u32 v10, v4, v9
	v_mul_lo_u32 v11, v4, v8
	v_mul_hi_u32 v12, v4, v8
	v_mul_hi_u32 v13, v7, v9
	v_mul_lo_u32 v9, v7, v9
	v_mul_hi_u32 v14, v7, v8
	v_mul_lo_u32 v8, v7, v8
	v_add_co_u32 v10, vcc_lo, v10, v11
	v_add_co_ci_u32_e32 v11, vcc_lo, 0, v12, vcc_lo
	v_add_co_u32 v9, vcc_lo, v10, v9
	v_add_co_ci_u32_e32 v9, vcc_lo, v11, v13, vcc_lo
	v_add_co_ci_u32_e32 v10, vcc_lo, 0, v14, vcc_lo
	v_add_co_u32 v8, vcc_lo, v9, v8
	v_add_co_ci_u32_e32 v9, vcc_lo, 0, v10, vcc_lo
	v_add_co_u32 v4, vcc_lo, v4, v8
	v_add_co_ci_u32_e32 v11, vcc_lo, v7, v9, vcc_lo
	v_mul_hi_u32 v13, v5, v4
	v_mad_u64_u32 v[9:10], null, v6, v4, 0
	v_mad_u64_u32 v[7:8], null, v5, v11, 0
	;; [unrolled: 1-line block ×3, first 2 shown]
	v_add_co_u32 v4, vcc_lo, v13, v7
	v_add_co_ci_u32_e32 v7, vcc_lo, 0, v8, vcc_lo
	v_add_co_u32 v4, vcc_lo, v4, v9
	v_add_co_ci_u32_e32 v4, vcc_lo, v7, v10, vcc_lo
	v_add_co_ci_u32_e32 v7, vcc_lo, 0, v12, vcc_lo
	v_add_co_u32 v4, vcc_lo, v4, v11
	v_add_co_ci_u32_e32 v9, vcc_lo, 0, v7, vcc_lo
	v_mul_lo_u32 v10, s19, v4
	v_mad_u64_u32 v[7:8], null, s18, v4, 0
	v_mul_lo_u32 v11, s18, v9
	v_sub_co_u32 v7, vcc_lo, v5, v7
	v_add3_u32 v8, v8, v11, v10
	v_sub_nc_u32_e32 v10, v6, v8
	v_subrev_co_ci_u32_e64 v10, s0, s19, v10, vcc_lo
	v_add_co_u32 v11, s0, v4, 2
	v_add_co_ci_u32_e64 v12, s0, 0, v9, s0
	v_sub_co_u32 v13, s0, v7, s18
	v_sub_co_ci_u32_e32 v8, vcc_lo, v6, v8, vcc_lo
	v_subrev_co_ci_u32_e64 v10, s0, 0, v10, s0
	v_cmp_le_u32_e32 vcc_lo, s18, v13
	v_cmp_eq_u32_e64 s0, s19, v8
	v_cndmask_b32_e64 v13, 0, -1, vcc_lo
	v_cmp_le_u32_e32 vcc_lo, s19, v10
	v_cndmask_b32_e64 v14, 0, -1, vcc_lo
	v_cmp_le_u32_e32 vcc_lo, s18, v7
	;; [unrolled: 2-line block ×3, first 2 shown]
	v_cndmask_b32_e64 v15, 0, -1, vcc_lo
	v_cmp_eq_u32_e32 vcc_lo, s19, v10
	v_cndmask_b32_e64 v7, v15, v7, s0
	v_cndmask_b32_e32 v10, v14, v13, vcc_lo
	v_add_co_u32 v13, vcc_lo, v4, 1
	v_add_co_ci_u32_e32 v14, vcc_lo, 0, v9, vcc_lo
	v_cmp_ne_u32_e32 vcc_lo, 0, v10
	v_cndmask_b32_e32 v8, v14, v12, vcc_lo
	v_cndmask_b32_e32 v10, v13, v11, vcc_lo
	v_cmp_ne_u32_e32 vcc_lo, 0, v7
	v_cndmask_b32_e32 v9, v9, v8, vcc_lo
	v_cndmask_b32_e32 v8, v4, v10, vcc_lo
.LBB0_4:                                ;   in Loop: Header=BB0_2 Depth=1
	s_andn2_saveexec_b32 s0, s1
	s_cbranch_execz .LBB0_6
; %bb.5:                                ;   in Loop: Header=BB0_2 Depth=1
	v_cvt_f32_u32_e32 v4, s18
	s_sub_i32 s1, 0, s18
	v_rcp_iflag_f32_e32 v4, v4
	v_mul_f32_e32 v4, 0x4f7ffffe, v4
	v_cvt_u32_f32_e32 v4, v4
	v_mul_lo_u32 v7, s1, v4
	v_mul_hi_u32 v7, v4, v7
	v_add_nc_u32_e32 v4, v4, v7
	v_mul_hi_u32 v4, v5, v4
	v_mul_lo_u32 v7, v4, s18
	v_add_nc_u32_e32 v8, 1, v4
	v_sub_nc_u32_e32 v7, v5, v7
	v_subrev_nc_u32_e32 v9, s18, v7
	v_cmp_le_u32_e32 vcc_lo, s18, v7
	v_cndmask_b32_e32 v7, v7, v9, vcc_lo
	v_cndmask_b32_e32 v4, v4, v8, vcc_lo
	v_mov_b32_e32 v9, v3
	v_cmp_le_u32_e32 vcc_lo, s18, v7
	v_add_nc_u32_e32 v8, 1, v4
	v_cndmask_b32_e32 v8, v4, v8, vcc_lo
.LBB0_6:                                ;   in Loop: Header=BB0_2 Depth=1
	s_or_b32 exec_lo, exec_lo, s0
	s_load_dwordx2 s[0:1], s[6:7], 0x0
	v_mul_lo_u32 v4, v9, s18
	v_mul_lo_u32 v7, v8, s19
	v_mad_u64_u32 v[10:11], null, v8, s18, 0
	s_add_u32 s16, s16, 1
	s_addc_u32 s17, s17, 0
	s_add_u32 s6, s6, 8
	s_addc_u32 s7, s7, 0
	;; [unrolled: 2-line block ×3, first 2 shown]
	v_add3_u32 v4, v11, v7, v4
	v_sub_co_u32 v5, vcc_lo, v5, v10
	v_sub_co_ci_u32_e32 v4, vcc_lo, v6, v4, vcc_lo
	s_waitcnt lgkmcnt(0)
	v_mul_lo_u32 v6, s1, v5
	v_mul_lo_u32 v4, s0, v4
	v_mad_u64_u32 v[1:2], null, s0, v5, v[1:2]
	v_cmp_ge_u64_e64 s0, s[16:17], s[10:11]
	s_and_b32 vcc_lo, exec_lo, s0
	v_add3_u32 v2, v6, v2, v4
	s_cbranch_vccnz .LBB0_9
; %bb.7:                                ;   in Loop: Header=BB0_2 Depth=1
	v_mov_b32_e32 v5, v8
	v_mov_b32_e32 v6, v9
	s_branch .LBB0_2
.LBB0_8:
	v_mov_b32_e32 v9, v6
	v_mov_b32_e32 v8, v5
.LBB0_9:
	s_lshl_b64 s[0:1], s[10:11], 3
	v_mul_hi_u32 v3, 0x10db20b, v0
	s_add_u32 s0, s12, s0
	s_addc_u32 s1, s13, s1
	s_load_dwordx2 s[4:5], s[4:5], 0x20
	s_load_dwordx2 s[0:1], s[0:1], 0x0
	v_mul_u32_u24_e32 v3, 0xf3, v3
	v_sub_nc_u32_e32 v0, v0, v3
	v_add_nc_u32_e32 v7, 0x1e6, v0
	s_waitcnt lgkmcnt(0)
	v_cmp_gt_u64_e32 vcc_lo, s[4:5], v[8:9]
	v_mul_lo_u32 v5, s0, v9
	v_mul_lo_u32 v6, s1, v8
	v_mad_u64_u32 v[3:4], null, s0, v8, v[1:2]
	v_cmp_le_u64_e64 s0, s[4:5], v[8:9]
	v_add_nc_u32_e32 v2, 0xf3, v0
	v_add3_u32 v4, v6, v4, v5
	v_add_nc_u32_e32 v6, 0x2d9, v0
	s_and_saveexec_b32 s1, s0
	s_xor_b32 s0, exec_lo, s1
; %bb.10:
	v_add_nc_u32_e32 v2, 0xf3, v0
	v_add_nc_u32_e32 v7, 0x1e6, v0
	;; [unrolled: 1-line block ×3, first 2 shown]
; %bb.11:
	s_or_saveexec_b32 s1, s0
	v_lshlrev_b64 v[4:5], 3, v[3:4]
	s_xor_b32 exec_lo, exec_lo, s1
	s_cbranch_execz .LBB0_13
; %bb.12:
	v_mov_b32_e32 v1, 0
	v_lshlrev_b64 v[8:9], 3, v[0:1]
	v_add_co_u32 v1, s0, s2, v4
	v_add_co_ci_u32_e64 v3, s0, s3, v5, s0
	v_add_co_u32 v8, s0, v1, v8
	v_add_co_ci_u32_e64 v9, s0, v3, v9, s0
	v_lshl_add_u32 v1, v0, 3, 0
	v_add_co_u32 v10, s0, 0x800, v8
	v_add_co_ci_u32_e64 v11, s0, 0, v9, s0
	v_add_co_u32 v12, s0, 0x1000, v8
	v_add_co_ci_u32_e64 v13, s0, 0, v9, s0
	v_add_co_u32 v18, s0, 0x1800, v8
	v_add_co_ci_u32_e64 v19, s0, 0, v9, s0
	v_add_co_u32 v20, s0, 0x2000, v8
	v_add_co_ci_u32_e64 v21, s0, 0, v9, s0
	v_add_co_u32 v22, s0, 0x2800, v8
	v_add_co_ci_u32_e64 v23, s0, 0, v9, s0
	v_add_co_u32 v24, s0, 0x3000, v8
	v_add_co_ci_u32_e64 v25, s0, 0, v9, s0
	v_add_co_u32 v26, s0, 0x3800, v8
	v_add_co_ci_u32_e64 v27, s0, 0, v9, s0
	v_add_co_u32 v28, s0, 0x4000, v8
	v_add_co_ci_u32_e64 v29, s0, 0, v9, s0
	v_add_co_u32 v30, s0, 0x4800, v8
	v_add_co_ci_u32_e64 v31, s0, 0, v9, s0
	s_clause 0x3
	global_load_dwordx2 v[14:15], v[8:9], off
	global_load_dwordx2 v[16:17], v[8:9], off offset:1944
	global_load_dwordx2 v[10:11], v[10:11], off offset:1840
	;; [unrolled: 1-line block ×3, first 2 shown]
	v_add_co_u32 v8, s0, 0x5000, v8
	v_add_co_ci_u32_e64 v9, s0, 0, v9, s0
	s_clause 0x7
	global_load_dwordx2 v[18:19], v[18:19], off offset:1632
	global_load_dwordx2 v[20:21], v[20:21], off offset:1528
	global_load_dwordx2 v[22:23], v[22:23], off offset:1424
	global_load_dwordx2 v[24:25], v[24:25], off offset:1320
	global_load_dwordx2 v[26:27], v[26:27], off offset:1216
	global_load_dwordx2 v[28:29], v[28:29], off offset:1112
	global_load_dwordx2 v[30:31], v[30:31], off offset:1008
	global_load_dwordx2 v[8:9], v[8:9], off offset:904
	v_add_nc_u32_e32 v3, 0xf00, v1
	v_add_nc_u32_e32 v32, 0x1e00, v1
	;; [unrolled: 1-line block ×5, first 2 shown]
	s_waitcnt vmcnt(10)
	ds_write2_b64 v1, v[14:15], v[16:17] offset1:243
	s_waitcnt vmcnt(8)
	ds_write2_b64 v3, v[10:11], v[12:13] offset0:6 offset1:249
	s_waitcnt vmcnt(6)
	ds_write2_b64 v32, v[18:19], v[20:21] offset0:12 offset1:255
	;; [unrolled: 2-line block ×5, first 2 shown]
.LBB0_13:
	s_or_b32 exec_lo, exec_lo, s1
	v_lshlrev_b32_e32 v1, 3, v0
	s_waitcnt lgkmcnt(0)
	s_barrier
	buffer_gl0_inv
	v_mov_b32_e32 v56, 0xe38f
	v_add_nc_u32_e32 v14, 0, v1
	v_cmp_gt_u32_e64 s0, 0x51, v0
	s_add_u32 s1, s8, 0x5af0
	s_addc_u32 s4, s9, 0
	s_mov_b32 s5, exec_lo
	v_add_nc_u32_e32 v3, 0x1e00, v14
	v_add_nc_u32_e32 v8, 0xf00, v14
	v_add_nc_u32_e32 v11, 0x3c80, v14
	v_add_nc_u32_e32 v10, 0x2d80, v14
	v_add_nc_u32_e32 v12, 0x4bc0, v14
	ds_read2_b64 v[15:18], v14 offset1:243
	ds_read2_b64 v[19:22], v3 offset0:12 offset1:255
	ds_read2_b64 v[23:26], v11 offset0:8 offset1:251
	ds_read2_b64 v[27:30], v8 offset0:6 offset1:249
	ds_read2_b64 v[31:34], v10 offset0:2 offset1:245
	ds_read2_b64 v[35:38], v12 offset0:6 offset1:249
	s_waitcnt lgkmcnt(0)
	s_barrier
	buffer_gl0_inv
	v_add_f32_e32 v39, v16, v20
	v_add_f32_e32 v9, v19, v23
	v_sub_f32_e32 v13, v20, v24
	v_add_f32_e32 v20, v20, v24
	v_sub_f32_e32 v42, v32, v36
	v_add_f32_e32 v43, v28, v32
	v_add_f32_e32 v32, v32, v36
	v_add_f32_e32 v8, v15, v19
	v_sub_f32_e32 v19, v19, v23
	v_add_f32_e32 v40, v27, v31
	v_add_f32_e32 v41, v31, v35
	v_sub_f32_e32 v31, v31, v35
	v_fma_f32 v9, -0.5, v9, v15
	v_fma_f32 v45, -0.5, v20, v16
	;; [unrolled: 1-line block ×3, first 2 shown]
	v_add_f32_e32 v8, v8, v23
	v_fma_f32 v23, -0.5, v41, v27
	v_fmamk_f32 v32, v13, 0xbf5db3d7, v9
	v_fmac_f32_e32 v9, 0x3f5db3d7, v13
	v_fmamk_f32 v13, v19, 0x3f5db3d7, v45
	v_fmac_f32_e32 v45, 0xbf5db3d7, v19
	;; [unrolled: 2-line block ×3, first 2 shown]
	v_add_f32_e32 v39, v39, v24
	v_add_f32_e32 v20, v40, v35
	v_fmamk_f32 v24, v42, 0xbf5db3d7, v23
	v_fmac_f32_e32 v23, 0x3f5db3d7, v42
	v_mul_f32_e32 v31, 0xbf5db3d7, v19
	v_mul_f32_e32 v35, 0xbf5db3d7, v16
	v_mul_f32_e32 v40, 0.5, v19
	v_add_f32_e32 v44, v21, v25
	v_mul_f32_e32 v41, -0.5, v16
	v_fmac_f32_e32 v31, 0.5, v24
	v_fmac_f32_e32 v35, -0.5, v23
	v_fmac_f32_e32 v40, 0x3f5db3d7, v24
	v_add_f32_e32 v36, v43, v36
	v_add_f32_e32 v15, v8, v20
	v_fmac_f32_e32 v41, 0x3f5db3d7, v23
	v_sub_f32_e32 v19, v8, v20
	v_add_f32_e32 v23, v32, v31
	v_add_f32_e32 v27, v9, v35
	;; [unrolled: 1-line block ×3, first 2 shown]
	v_sub_f32_e32 v31, v32, v31
	v_sub_f32_e32 v35, v9, v35
	;; [unrolled: 1-line block ×3, first 2 shown]
	v_add_f32_e32 v8, v17, v21
	v_fma_f32 v9, -0.5, v44, v17
	v_sub_f32_e32 v13, v22, v26
	v_add_f32_e32 v17, v18, v22
	v_add_f32_e32 v16, v39, v36
	v_sub_f32_e32 v20, v39, v36
	v_add_f32_e32 v39, v8, v25
	v_add_f32_e32 v8, v22, v26
	v_fmamk_f32 v40, v13, 0xbf5db3d7, v9
	v_fmac_f32_e32 v9, 0x3f5db3d7, v13
	v_add_f32_e32 v13, v17, v26
	v_add_f32_e32 v17, v34, v38
	v_fmac_f32_e32 v18, -0.5, v8
	v_sub_f32_e32 v8, v21, v25
	v_add_f32_e32 v21, v33, v37
	v_add_f32_e32 v22, v30, v34
	v_fmac_f32_e32 v30, -0.5, v17
	v_sub_f32_e32 v17, v33, v37
	v_add_f32_e32 v25, v29, v33
	v_fma_f32 v26, -0.5, v21, v29
	v_sub_f32_e32 v21, v34, v38
	v_add_f32_e32 v28, v45, v41
	v_fmamk_f32 v29, v17, 0x3f5db3d7, v30
	v_fmac_f32_e32 v30, 0xbf5db3d7, v17
	v_sub_f32_e32 v36, v45, v41
	v_fmamk_f32 v41, v8, 0x3f5db3d7, v18
	v_fmac_f32_e32 v18, 0xbf5db3d7, v8
	v_fmamk_f32 v8, v21, 0xbf5db3d7, v26
	v_mul_f32_e32 v34, 0xbf5db3d7, v29
	v_fmac_f32_e32 v26, 0x3f5db3d7, v21
	v_mul_f32_e32 v42, 0xbf5db3d7, v30
	v_mul_f32_e32 v43, 0.5, v29
	v_add_f32_e32 v17, v25, v37
	v_fmac_f32_e32 v34, 0.5, v8
	v_add_f32_e32 v38, v22, v38
	v_fmac_f32_e32 v42, -0.5, v26
	v_fmac_f32_e32 v43, 0x3f5db3d7, v8
	v_and_b32_e32 v8, 0xff, v0
	v_add_f32_e32 v21, v39, v17
	v_sub_f32_e32 v33, v39, v17
	v_add_f32_e32 v29, v9, v42
	v_sub_f32_e32 v17, v9, v42
	v_mul_lo_u16 v9, 0xab, v8
	v_add_f32_e32 v25, v40, v34
	v_add_f32_e32 v22, v13, v38
	v_sub_f32_e32 v37, v40, v34
	v_sub_f32_e32 v34, v13, v38
	v_mov_b32_e32 v13, 0xaaab
	v_lshrrev_b16 v9, 10, v9
	v_mad_u32_u24 v39, v0, 40, v14
	v_mul_f32_e32 v44, -0.5, v30
	v_sub_f32_e32 v38, v41, v43
	v_mul_u32_u24_sdwa v13, v2, v13 dst_sel:DWORD dst_unused:UNUSED_PAD src0_sel:WORD_0 src1_sel:DWORD
	v_mul_lo_u16 v40, v9, 6
	ds_write2_b64 v39, v[15:16], v[23:24] offset1:1
	v_fmac_f32_e32 v44, 0x3f5db3d7, v26
	v_add_f32_e32 v26, v41, v43
	v_lshrrev_b32_e32 v51, 18, v13
	v_sub_nc_u16 v52, v0, v40
	v_mov_b32_e32 v13, 5
	v_mul_i32_i24_e32 v41, 6, v2
	ds_write2_b64 v39, v[27:28], v[19:20] offset0:2 offset1:3
	v_mul_lo_u16 v15, v51, 6
	v_add_f32_e32 v30, v18, v44
	v_mul_u32_u24_sdwa v19, v52, v13 dst_sel:DWORD dst_unused:UNUSED_PAD src0_sel:BYTE_0 src1_sel:DWORD
	v_sub_f32_e32 v18, v18, v44
	v_lshl_add_u32 v16, v41, 3, 0
	v_sub_nc_u16 v53, v2, v15
	ds_write2_b64 v39, v[31:32], v[35:36] offset0:4 offset1:5
	v_lshlrev_b32_e32 v15, 3, v19
	ds_write2_b64 v16, v[21:22], v[25:26] offset1:1
	ds_write2_b64 v16, v[29:30], v[33:34] offset0:2 offset1:3
	v_mul_u32_u24_sdwa v13, v53, v13 dst_sel:DWORD dst_unused:UNUSED_PAD src0_sel:WORD_0 src1_sel:DWORD
	ds_write2_b64 v16, v[37:38], v[17:18] offset0:4 offset1:5
	s_waitcnt lgkmcnt(0)
	s_barrier
	buffer_gl0_inv
	global_load_dwordx4 v[17:20], v15, s[8:9]
	v_lshlrev_b32_e32 v13, 3, v13
	s_clause 0x4
	global_load_dwordx4 v[21:24], v13, s[8:9]
	global_load_dwordx4 v[25:28], v15, s[8:9] offset:16
	global_load_dwordx4 v[29:32], v13, s[8:9] offset:16
	global_load_dwordx2 v[41:42], v15, s[8:9] offset:32
	global_load_dwordx2 v[43:44], v13, s[8:9] offset:32
	v_lshl_add_u32 v15, v7, 3, 0
	v_add_nc_u32_e32 v13, 0x1680, v14
	ds_read_b64 v[45:46], v15
	ds_read2_b64 v[33:36], v13 offset0:9 offset1:252
	v_add_nc_u32_e32 v37, 0x25c0, v14
	v_mad_i32_i24 v13, 0xffffffd8, v2, v16
	ds_read2_b64 v[37:40], v37 offset0:7 offset1:250
	ds_read_b64 v[47:48], v13
	ds_read_b64 v[49:50], v14 offset:21384
	s_waitcnt vmcnt(5) lgkmcnt(4)
	v_mul_f32_e32 v54, v18, v46
	v_mul_f32_e32 v18, v18, v45
	s_waitcnt lgkmcnt(3)
	v_mul_f32_e32 v55, v20, v36
	v_mul_f32_e32 v20, v20, v35
	v_fmac_f32_e32 v54, v17, v45
	v_fma_f32 v45, v17, v46, -v18
	v_add_nc_u32_e32 v17, 0x3500, v14
	s_waitcnt vmcnt(4)
	v_mul_f32_e32 v46, v34, v22
	v_mul_f32_e32 v22, v33, v22
	v_fmac_f32_e32 v55, v19, v35
	v_fma_f32 v35, v19, v36, -v20
	ds_read2_b64 v[17:20], v17 offset0:5 offset1:248
	v_fmac_f32_e32 v46, v33, v21
	v_fma_f32 v33, v34, v21, -v22
	s_waitcnt lgkmcnt(3)
	v_mul_f32_e32 v34, v38, v24
	v_mul_f32_e32 v21, v37, v24
	v_add_nc_u32_e32 v22, 0x4400, v14
	v_fmac_f32_e32 v34, v37, v23
	v_fma_f32 v36, v38, v23, -v21
	ds_read2_b64 v[21:24], v22 offset0:11 offset1:254
	s_waitcnt vmcnt(3)
	v_mul_f32_e32 v37, v26, v40
	v_mul_f32_e32 v26, v26, v39
	v_fmac_f32_e32 v37, v25, v39
	v_fma_f32 v38, v25, v40, -v26
	s_waitcnt lgkmcnt(1)
	v_mul_f32_e32 v39, v28, v20
	v_mul_f32_e32 v25, v28, v19
	s_waitcnt vmcnt(2)
	v_mul_f32_e32 v28, v18, v30
	v_mul_f32_e32 v30, v17, v30
	v_fmac_f32_e32 v39, v27, v19
	v_fma_f32 v20, v27, v20, -v25
	ds_read_b64 v[25:26], v14
	v_mul_lo_u16 v19, v8, 57
	v_fmac_f32_e32 v28, v17, v29
	v_fma_f32 v17, v18, v29, -v30
	s_waitcnt lgkmcnt(1)
	v_mul_f32_e32 v27, v22, v32
	v_mul_f32_e32 v18, v21, v32
	v_mul_u32_u24_sdwa v30, v2, v56 dst_sel:DWORD dst_unused:UNUSED_PAD src0_sel:WORD_0 src1_sel:DWORD
	v_lshrrev_b16 v57, 11, v19
	s_waitcnt vmcnt(1)
	v_mul_f32_e32 v19, v42, v23
	v_fmac_f32_e32 v27, v21, v31
	v_fma_f32 v21, v22, v31, -v18
	v_mul_f32_e32 v22, v42, v24
	v_lshrrev_b32_e32 v58, 21, v30
	v_mov_b32_e32 v29, 0x120
	v_mov_b32_e32 v18, 3
	v_mul_lo_u16 v30, v57, 36
	v_fmac_f32_e32 v22, v41, v23
	v_fma_f32 v23, v41, v24, -v19
	v_mul_lo_u16 v24, v58, 36
	v_mul_u32_u24_sdwa v9, v9, v29 dst_sel:DWORD dst_unused:UNUSED_PAD src0_sel:WORD_0 src1_sel:DWORD
	v_mul_u32_u24_e32 v29, 0x120, v51
	v_sub_nc_u16 v51, v0, v30
	v_lshlrev_b32_sdwa v30, v18, v53 dst_sel:DWORD dst_unused:UNUSED_PAD src0_sel:DWORD src1_sel:WORD_0
	v_sub_nc_u16 v59, v2, v24
	v_lshlrev_b32_sdwa v24, v18, v52 dst_sel:DWORD dst_unused:UNUSED_PAD src0_sel:DWORD src1_sel:BYTE_0
	s_waitcnt lgkmcnt(0)
	v_add_f32_e32 v40, v26, v35
	v_sub_f32_e32 v32, v35, v20
	v_add3_u32 v60, 0, v29, v30
	s_waitcnt vmcnt(0)
	v_mul_f32_e32 v29, v49, v44
	v_add3_u32 v9, 0, v9, v24
	v_mul_f32_e32 v24, v50, v44
	v_add_f32_e32 v30, v25, v55
	v_add_f32_e32 v35, v35, v20
	v_fma_f32 v29, v50, v43, -v29
	v_add_f32_e32 v42, v54, v37
	v_fmac_f32_e32 v24, v49, v43
	v_add_f32_e32 v43, v37, v22
	v_add_f32_e32 v40, v40, v20
	;; [unrolled: 1-line block ×4, first 2 shown]
	v_sub_f32_e32 v41, v55, v39
	v_sub_f32_e32 v44, v38, v23
	v_add_f32_e32 v30, v30, v39
	v_add_f32_e32 v39, v45, v38
	;; [unrolled: 1-line block ×3, first 2 shown]
	v_sub_f32_e32 v37, v37, v22
	v_fmac_f32_e32 v26, -0.5, v35
	v_add_f32_e32 v35, v34, v27
	v_add_f32_e32 v22, v42, v22
	v_sub_f32_e32 v42, v36, v21
	v_fmac_f32_e32 v54, -0.5, v43
	v_add_f32_e32 v43, v48, v36
	v_add_f32_e32 v36, v36, v21
	v_sub_f32_e32 v34, v34, v27
	v_add_f32_e32 v27, v20, v27
	v_sub_f32_e32 v49, v17, v29
	v_add_f32_e32 v20, v33, v17
	v_add_f32_e32 v17, v17, v29
	v_fmac_f32_e32 v45, -0.5, v38
	v_add_f32_e32 v23, v39, v23
	v_add_f32_e32 v39, v46, v28
	v_add_f32_e32 v38, v28, v24
	v_sub_f32_e32 v28, v28, v24
	v_fma_f32 v47, -0.5, v35, v47
	v_fmac_f32_e32 v48, -0.5, v36
	v_fmac_f32_e32 v33, -0.5, v17
	v_fma_f32 v50, -0.5, v31, v25
	v_fmamk_f32 v35, v37, 0x3f5db3d7, v45
	v_fmac_f32_e32 v45, 0xbf5db3d7, v37
	v_add_f32_e32 v43, v43, v21
	v_fmac_f32_e32 v46, -0.5, v38
	v_add_f32_e32 v29, v20, v29
	v_fmamk_f32 v36, v41, 0x3f5db3d7, v26
	v_fmac_f32_e32 v26, 0xbf5db3d7, v41
	v_fmamk_f32 v41, v42, 0xbf5db3d7, v47
	v_fmac_f32_e32 v47, 0x3f5db3d7, v42
	;; [unrolled: 2-line block ×4, first 2 shown]
	v_add_f32_e32 v31, v39, v24
	v_fmamk_f32 v17, v32, 0xbf5db3d7, v50
	v_fmac_f32_e32 v50, 0x3f5db3d7, v32
	v_fmamk_f32 v32, v44, 0xbf5db3d7, v54
	v_mul_f32_e32 v37, 0xbf5db3d7, v35
	v_mul_f32_e32 v39, 0.5, v35
	v_fmac_f32_e32 v54, 0x3f5db3d7, v44
	v_add_f32_e32 v21, v40, v23
	v_sub_f32_e32 v23, v40, v23
	v_mul_f32_e32 v38, 0xbf5db3d7, v45
	v_mul_f32_e32 v40, -0.5, v45
	v_add_f32_e32 v20, v30, v22
	v_sub_f32_e32 v22, v30, v22
	v_fmamk_f32 v30, v49, 0xbf5db3d7, v46
	v_add_f32_e32 v25, v43, v29
	v_sub_f32_e32 v28, v43, v29
	v_mul_f32_e32 v43, 0xbf5db3d7, v34
	v_mul_f32_e32 v45, 0.5, v34
	v_fmac_f32_e32 v46, 0x3f5db3d7, v49
	v_mul_f32_e32 v44, 0xbf5db3d7, v33
	v_mul_f32_e32 v49, -0.5, v33
	v_mov_b32_e32 v19, 4
	v_fmac_f32_e32 v37, 0.5, v32
	v_fmac_f32_e32 v39, 0x3f5db3d7, v32
	v_fmac_f32_e32 v38, -0.5, v54
	v_fmac_f32_e32 v40, 0x3f5db3d7, v54
	v_fmac_f32_e32 v43, 0.5, v30
	v_fmac_f32_e32 v45, 0x3f5db3d7, v30
	v_fmac_f32_e32 v44, -0.5, v46
	v_fmac_f32_e32 v49, 0x3f5db3d7, v46
	v_lshlrev_b32_sdwa v52, v19, v51 dst_sel:DWORD dst_unused:UNUSED_PAD src0_sel:DWORD src1_sel:BYTE_0
	v_add_f32_e32 v29, v17, v37
	v_add_f32_e32 v30, v36, v39
	v_lshlrev_b32_sdwa v53, v19, v59 dst_sel:DWORD dst_unused:UNUSED_PAD src0_sel:DWORD src1_sel:WORD_0
	v_add_f32_e32 v24, v27, v31
	v_sub_f32_e32 v27, v27, v31
	v_add_f32_e32 v31, v50, v38
	v_add_f32_e32 v32, v26, v40
	v_sub_f32_e32 v33, v17, v37
	v_sub_f32_e32 v35, v50, v38
	;; [unrolled: 1-line block ×4, first 2 shown]
	v_add_f32_e32 v37, v41, v43
	v_add_f32_e32 v38, v42, v45
	;; [unrolled: 1-line block ×4, first 2 shown]
	s_barrier
	buffer_gl0_inv
	v_sub_f32_e32 v41, v41, v43
	v_sub_f32_e32 v43, v47, v44
	;; [unrolled: 1-line block ×4, first 2 shown]
	ds_write2_b64 v9, v[20:21], v[29:30] offset1:6
	ds_write2_b64 v9, v[31:32], v[22:23] offset0:12 offset1:18
	ds_write2_b64 v9, v[33:34], v[35:36] offset0:24 offset1:30
	ds_write2_b64 v60, v[24:25], v[37:38] offset1:6
	ds_write2_b64 v60, v[39:40], v[27:28] offset0:12 offset1:18
	ds_write2_b64 v60, v[41:42], v[43:44] offset0:24 offset1:30
	s_waitcnt lgkmcnt(0)
	s_barrier
	buffer_gl0_inv
	s_clause 0x1
	global_load_dwordx4 v[20:23], v52, s[8:9] offset:240
	global_load_dwordx4 v[24:27], v53, s[8:9] offset:240
	v_mul_u32_u24_sdwa v9, v7, v56 dst_sel:DWORD dst_unused:UNUSED_PAD src0_sel:WORD_0 src1_sel:DWORD
	v_mul_u32_u24_sdwa v17, v6, v56 dst_sel:DWORD dst_unused:UNUSED_PAD src0_sel:WORD_0 src1_sel:DWORD
	v_mov_b32_e32 v47, 0x4bdb
	v_mul_lo_u16 v8, v8, 19
	v_lshrrev_b32_e32 v9, 21, v9
	v_lshrrev_b32_e32 v44, 21, v17
	v_lshrrev_b16 v52, 11, v8
	v_mul_lo_u16 v17, v9, 36
	v_mul_lo_u16 v28, v44, 36
	v_mul_u32_u24_e32 v9, 0x360, v9
	v_mul_u32_u24_e32 v44, 0x360, v44
	v_sub_nc_u16 v45, v7, v17
	v_sub_nc_u16 v46, v6, v28
	v_lshlrev_b32_sdwa v17, v19, v45 dst_sel:DWORD dst_unused:UNUSED_PAD src0_sel:DWORD src1_sel:WORD_0
	v_lshlrev_b32_sdwa v32, v19, v46 dst_sel:DWORD dst_unused:UNUSED_PAD src0_sel:DWORD src1_sel:WORD_0
	s_clause 0x1
	global_load_dwordx4 v[28:31], v17, s[8:9] offset:240
	global_load_dwordx4 v[32:35], v32, s[8:9] offset:240
	ds_read2_b64 v[36:39], v3 offset0:12 offset1:255
	ds_read2_b64 v[40:43], v11 offset0:8 offset1:251
	v_lshrrev_b16 v17, 2, v2
	v_lshlrev_b32_sdwa v45, v18, v45 dst_sel:DWORD dst_unused:UNUSED_PAD src0_sel:DWORD src1_sel:WORD_0
	v_add3_u32 v45, 0, v9, v45
	s_waitcnt vmcnt(3) lgkmcnt(0)
	v_mul_f32_e32 v49, v23, v41
	v_mul_f32_e32 v23, v23, v40
	s_waitcnt vmcnt(2)
	v_mul_f32_e32 v50, v25, v39
	v_mul_f32_e32 v25, v25, v38
	;; [unrolled: 1-line block ×3, first 2 shown]
	v_fmac_f32_e32 v49, v22, v40
	v_mul_f32_e32 v40, v27, v43
	v_mul_f32_e32 v27, v27, v42
	;; [unrolled: 1-line block ×3, first 2 shown]
	v_fmac_f32_e32 v50, v24, v38
	v_fma_f32 v38, v24, v39, -v25
	v_fmac_f32_e32 v40, v26, v42
	v_fma_f32 v39, v26, v43, -v27
	ds_read2_b64 v[24:27], v12 offset0:6 offset1:249
	v_fmac_f32_e32 v48, v20, v36
	v_fma_f32 v36, v20, v37, -v21
	v_fma_f32 v37, v22, v41, -v23
	ds_read2_b64 v[20:23], v10 offset0:2 offset1:245
	v_mul_u32_u24_sdwa v41, v17, v47 dst_sel:DWORD dst_unused:UNUSED_PAD src0_sel:WORD_0 src1_sel:DWORD
	v_mov_b32_e32 v42, 0x360
	v_lshlrev_b32_sdwa v43, v18, v59 dst_sel:DWORD dst_unused:UNUSED_PAD src0_sel:DWORD src1_sel:WORD_0
	v_lshl_add_u32 v17, v6, 3, 0
	v_lshrrev_b32_e32 v53, 19, v41
	v_mul_u32_u24_e32 v41, 0x360, v58
	v_mul_u32_u24_sdwa v8, v57, v42 dst_sel:DWORD dst_unused:UNUSED_PAD src0_sel:WORD_0 src1_sel:DWORD
	v_lshlrev_b32_sdwa v42, v18, v51 dst_sel:DWORD dst_unused:UNUSED_PAD src0_sel:DWORD src1_sel:BYTE_0
	v_mul_lo_u16 v51, 0x6c, v52
	v_sub_f32_e32 v57, v36, v37
	v_add3_u32 v43, 0, v41, v43
	v_add_f32_e32 v58, v50, v40
	v_add3_u32 v42, 0, v8, v42
	ds_read_b64 v[8:9], v14
	s_waitcnt vmcnt(1) lgkmcnt(2)
	v_mul_f32_e32 v54, v25, v31
	v_mul_f32_e32 v31, v24, v31
	s_waitcnt vmcnt(0) lgkmcnt(1)
	v_mul_f32_e32 v55, v23, v33
	v_fmac_f32_e32 v54, v24, v30
	v_mul_f32_e32 v24, v22, v33
	v_mul_f32_e32 v41, v29, v21
	;; [unrolled: 1-line block ×3, first 2 shown]
	v_fma_f32 v30, v25, v30, -v31
	v_mul_lo_u16 v25, 0x6c, v53
	v_fmac_f32_e32 v55, v22, v32
	v_fma_f32 v32, v23, v32, -v24
	ds_read_b64 v[22:23], v15
	v_mul_f32_e32 v33, v27, v35
	v_mul_f32_e32 v24, v26, v35
	v_fmac_f32_e32 v41, v28, v20
	v_fma_f32 v56, v28, v21, -v29
	v_lshlrev_b32_sdwa v28, v18, v46 dst_sel:DWORD dst_unused:UNUSED_PAD src0_sel:DWORD src1_sel:WORD_0
	v_sub_nc_u16 v46, v0, v51
	v_sub_nc_u16 v51, v2, v25
	v_fmac_f32_e32 v33, v26, v34
	v_fma_f32 v34, v27, v34, -v24
	ds_read_b64 v[24:25], v17
	ds_read_b64 v[20:21], v13
	s_waitcnt lgkmcnt(3)
	v_add_f32_e32 v27, v9, v36
	v_add3_u32 v44, 0, v44, v28
	v_add_f32_e32 v26, v8, v48
	v_add_f32_e32 v36, v36, v37
	;; [unrolled: 1-line block ×4, first 2 shown]
	v_sub_f32_e32 v37, v38, v39
	v_sub_f32_e32 v48, v48, v49
	s_waitcnt lgkmcnt(2)
	v_add_f32_e32 v31, v23, v56
	v_add_f32_e32 v26, v26, v49
	v_sub_f32_e32 v49, v56, v30
	v_fma_f32 v8, -0.5, v35, v8
	v_fmac_f32_e32 v9, -0.5, v36
	v_add_f32_e32 v31, v31, v30
	v_add_f32_e32 v36, v55, v33
	s_waitcnt lgkmcnt(0)
	s_barrier
	buffer_gl0_inv
	v_add_f32_e32 v35, v24, v55
	v_add_f32_e32 v29, v21, v38
	v_add_f32_e32 v28, v20, v50
	v_add_f32_e32 v38, v38, v39
	v_fma_f32 v20, -0.5, v58, v20
	v_sub_f32_e32 v58, v32, v34
	v_add_f32_e32 v29, v29, v39
	v_add_f32_e32 v39, v22, v41
	;; [unrolled: 1-line block ×3, first 2 shown]
	v_sub_f32_e32 v40, v50, v40
	v_add_f32_e32 v50, v56, v30
	v_fmac_f32_e32 v21, -0.5, v38
	v_add_f32_e32 v30, v39, v54
	v_add_f32_e32 v39, v41, v54
	;; [unrolled: 1-line block ×3, first 2 shown]
	v_sub_f32_e32 v41, v41, v54
	v_fmac_f32_e32 v23, -0.5, v50
	v_sub_f32_e32 v55, v55, v33
	v_fma_f32 v22, -0.5, v39, v22
	v_add_f32_e32 v39, v32, v34
	v_add_f32_e32 v32, v35, v33
	v_fma_f32 v24, -0.5, v36, v24
	v_add_f32_e32 v33, v38, v34
	v_fmamk_f32 v34, v57, 0xbf5db3d7, v8
	v_fmac_f32_e32 v25, -0.5, v39
	v_fmamk_f32 v35, v48, 0x3f5db3d7, v9
	v_fmac_f32_e32 v8, 0x3f5db3d7, v57
	v_fmac_f32_e32 v9, 0xbf5db3d7, v48
	v_fmamk_f32 v36, v37, 0xbf5db3d7, v20
	v_fmac_f32_e32 v20, 0x3f5db3d7, v37
	v_fmamk_f32 v37, v40, 0x3f5db3d7, v21
	;; [unrolled: 2-line block ×3, first 2 shown]
	v_fmamk_f32 v39, v41, 0x3f5db3d7, v23
	v_fmac_f32_e32 v22, 0x3f5db3d7, v49
	v_fmac_f32_e32 v23, 0xbf5db3d7, v41
	v_fmamk_f32 v40, v58, 0xbf5db3d7, v24
	v_fmac_f32_e32 v24, 0x3f5db3d7, v58
	v_fmamk_f32 v41, v55, 0x3f5db3d7, v25
	v_fmac_f32_e32 v25, 0xbf5db3d7, v55
	ds_write2_b64 v42, v[26:27], v[34:35] offset1:36
	ds_write_b64 v42, v[8:9] offset:576
	ds_write2_b64 v43, v[28:29], v[36:37] offset1:36
	ds_write_b64 v43, v[20:21] offset:576
	;; [unrolled: 2-line block ×4, first 2 shown]
	v_lshrrev_b16 v8, 2, v7
	v_lshlrev_b32_sdwa v54, v19, v46 dst_sel:DWORD dst_unused:UNUSED_PAD src0_sel:DWORD src1_sel:BYTE_0
	s_waitcnt lgkmcnt(0)
	s_barrier
	buffer_gl0_inv
	v_mul_u32_u24_sdwa v8, v8, v47 dst_sel:DWORD dst_unused:UNUSED_PAD src0_sel:WORD_0 src1_sel:DWORD
	global_load_dwordx4 v[20:23], v54, s[8:9] offset:816
	v_lshlrev_b32_sdwa v56, v19, v51 dst_sel:DWORD dst_unused:UNUSED_PAD src0_sel:DWORD src1_sel:WORD_0
	v_lshrrev_b16 v9, 2, v6
	v_lshrrev_b32_e32 v44, 19, v8
	global_load_dwordx4 v[24:27], v56, s[8:9] offset:816
	v_mul_lo_u16 v8, 0x6c, v44
	v_sub_nc_u16 v45, v7, v8
	v_mul_u32_u24_sdwa v8, v9, v47 dst_sel:DWORD dst_unused:UNUSED_PAD src0_sel:WORD_0 src1_sel:DWORD
	v_lshlrev_b32_sdwa v9, v19, v45 dst_sel:DWORD dst_unused:UNUSED_PAD src0_sel:DWORD src1_sel:WORD_0
	v_lshrrev_b32_e32 v47, 19, v8
	global_load_dwordx4 v[28:31], v9, s[8:9] offset:816
	v_mul_lo_u16 v8, 0x6c, v47
	v_sub_nc_u16 v48, v6, v8
	v_lshlrev_b32_sdwa v8, v19, v48 dst_sel:DWORD dst_unused:UNUSED_PAD src0_sel:DWORD src1_sel:WORD_0
	global_load_dwordx4 v[32:35], v8, s[8:9] offset:816
	ds_read2_b64 v[36:39], v3 offset0:12 offset1:255
	ds_read2_b64 v[40:43], v11 offset0:8 offset1:251
	s_waitcnt vmcnt(3) lgkmcnt(1)
	v_mul_f32_e32 v49, v21, v37
	v_mul_f32_e32 v8, v21, v36
	s_waitcnt lgkmcnt(0)
	v_mul_f32_e32 v50, v23, v41
	v_mul_f32_e32 v9, v23, v40
	v_fmac_f32_e32 v49, v20, v36
	v_fma_f32 v55, v20, v37, -v8
	v_fmac_f32_e32 v50, v22, v40
	v_fma_f32 v40, v22, v41, -v9
	ds_read2_b64 v[20:23], v10 offset0:2 offset1:245
	s_waitcnt vmcnt(2)
	v_mul_f32_e32 v54, v25, v39
	v_mul_f32_e32 v25, v25, v38
	;; [unrolled: 1-line block ×4, first 2 shown]
	v_mov_b32_e32 v9, 0
	v_fmac_f32_e32 v54, v24, v38
	v_fma_f32 v41, v24, v39, -v25
	ds_read2_b64 v[36:39], v12 offset0:6 offset1:249
	v_fmac_f32_e32 v56, v26, v42
	v_fma_f32 v42, v26, v43, -v8
	v_lshlrev_b32_e32 v8, 1, v0
	v_add_nc_u32_e32 v24, 0xffffffaf, v0
	v_mul_u32_u24_e32 v27, 0xa20, v53
	v_cndmask_b32_e64 v58, v24, v2, s0
	v_mov_b32_e32 v24, 0xa20
	s_waitcnt vmcnt(1) lgkmcnt(1)
	v_mul_f32_e32 v43, v29, v21
	v_mul_f32_e32 v25, v29, v20
	v_lshlrev_b32_sdwa v29, v18, v46 dst_sel:DWORD dst_unused:UNUSED_PAD src0_sel:DWORD src1_sel:BYTE_0
	v_sub_f32_e32 v46, v41, v42
	v_fmac_f32_e32 v43, v28, v20
	v_fma_f32 v59, v28, v21, -v25
	v_lshlrev_b64 v[20:21], 3, v[8:9]
	s_waitcnt lgkmcnt(0)
	v_mul_f32_e32 v57, v37, v31
	v_mul_f32_e32 v26, v36, v31
	v_lshlrev_b32_e32 v8, 1, v58
	v_mul_u32_u24_e32 v28, 0xa20, v44
	v_lshlrev_b32_sdwa v31, v18, v45 dst_sel:DWORD dst_unused:UNUSED_PAD src0_sel:DWORD src1_sel:WORD_0
	v_add_co_u32 v60, s0, s8, v20
	s_waitcnt vmcnt(0)
	v_mul_f32_e32 v20, v22, v33
	v_fmac_f32_e32 v57, v36, v30
	v_fma_f32 v36, v37, v30, -v26
	v_mul_f32_e32 v37, v23, v33
	v_add_co_ci_u32_e64 v61, s0, s9, v21, s0
	v_fma_f32 v53, v23, v32, -v20
	v_lshlrev_b64 v[20:21], 3, v[8:9]
	v_mul_u32_u24_sdwa v26, v52, v24 dst_sel:DWORD dst_unused:UNUSED_PAD src0_sel:WORD_0 src1_sel:DWORD
	v_mul_f32_e32 v52, v39, v35
	v_fmac_f32_e32 v37, v22, v32
	v_mul_f32_e32 v22, v38, v35
	v_lshlrev_b32_sdwa v30, v18, v51 dst_sel:DWORD dst_unused:UNUSED_PAD src0_sel:DWORD src1_sel:WORD_0
	v_add_co_u32 v24, s0, s8, v20
	v_fmac_f32_e32 v52, v38, v34
	v_fma_f32 v38, v39, v34, -v22
	ds_read_b64 v[22:23], v14
	v_add_co_ci_u32_e64 v25, s0, s9, v21, s0
	v_lshlrev_b32_sdwa v32, v18, v48 dst_sel:DWORD dst_unused:UNUSED_PAD src0_sel:DWORD src1_sel:WORD_0
	v_add3_u32 v48, 0, v26, v29
	v_add3_u32 v51, 0, v27, v30
	ds_read_b64 v[26:27], v15
	v_add3_u32 v62, 0, v28, v31
	ds_read_b64 v[28:29], v17
	ds_read_b64 v[20:21], v13
	v_mul_u32_u24_e32 v8, 0xa20, v47
	v_add_f32_e32 v39, v49, v50
	v_sub_f32_e32 v44, v55, v40
	v_add_f32_e32 v45, v55, v40
	v_sub_f32_e32 v47, v54, v56
	v_add3_u32 v8, 0, v8, v32
	v_add_co_u32 v24, s0, 0x800, v24
	v_add_co_ci_u32_e64 v25, s0, 0, v25, s0
	s_waitcnt lgkmcnt(3)
	v_add_f32_e32 v30, v22, v49
	v_add_f32_e32 v31, v23, v55
	v_fma_f32 v22, -0.5, v39, v22
	v_mov_b32_e32 v39, 0x6523
	v_fmac_f32_e32 v23, -0.5, v45
	v_add_f32_e32 v30, v30, v50
	v_add_f32_e32 v31, v31, v40
	v_sub_f32_e32 v40, v49, v50
	v_sub_f32_e32 v49, v59, v36
	s_waitcnt lgkmcnt(0)
	v_add_f32_e32 v32, v21, v41
	v_add_f32_e32 v34, v20, v54
	;; [unrolled: 1-line block ×4, first 2 shown]
	v_mul_u32_u24_sdwa v55, v6, v39 dst_sel:DWORD dst_unused:UNUSED_PAD src0_sel:WORD_0 src1_sel:DWORD
	v_add_f32_e32 v33, v32, v42
	v_add_f32_e32 v32, v34, v56
	;; [unrolled: 1-line block ×4, first 2 shown]
	v_fmac_f32_e32 v21, -0.5, v41
	v_add_f32_e32 v41, v29, v53
	v_sub_f32_e32 v54, v43, v57
	v_fma_f32 v20, -0.5, v42, v20
	v_add_f32_e32 v35, v34, v36
	v_add_f32_e32 v36, v43, v57
	v_mul_u32_u24_sdwa v42, v7, v39 dst_sel:DWORD dst_unused:UNUSED_PAD src0_sel:WORD_0 src1_sel:DWORD
	v_add_f32_e32 v39, v37, v52
	v_add_f32_e32 v34, v26, v43
	v_fmac_f32_e32 v27, -0.5, v50
	v_fma_f32 v26, -0.5, v36, v26
	v_add_f32_e32 v36, v28, v37
	v_fma_f32 v28, -0.5, v39, v28
	v_add_f32_e32 v39, v53, v38
	v_sub_f32_e32 v45, v53, v38
	v_lshrrev_b32_e32 v56, 23, v42
	v_sub_f32_e32 v50, v37, v52
	v_add_f32_e32 v37, v41, v38
	v_fmac_f32_e32 v29, -0.5, v39
	v_fmamk_f32 v38, v44, 0xbf5db3d7, v22
	v_fmamk_f32 v39, v40, 0x3f5db3d7, v23
	v_fmac_f32_e32 v22, 0x3f5db3d7, v44
	v_fmac_f32_e32 v23, 0xbf5db3d7, v40
	v_fmamk_f32 v40, v46, 0xbf5db3d7, v20
	v_fmamk_f32 v41, v47, 0x3f5db3d7, v21
	v_fmac_f32_e32 v20, 0x3f5db3d7, v46
	v_fmac_f32_e32 v21, 0xbf5db3d7, v47
	v_add_f32_e32 v34, v34, v57
	v_fmamk_f32 v42, v49, 0xbf5db3d7, v26
	v_fmamk_f32 v43, v54, 0x3f5db3d7, v27
	;; [unrolled: 1-line block ×3, first 2 shown]
	v_fmac_f32_e32 v28, 0x3f5db3d7, v45
	v_add_f32_e32 v36, v36, v52
	v_fmac_f32_e32 v26, 0x3f5db3d7, v49
	v_fmac_f32_e32 v27, 0xbf5db3d7, v54
	v_add_co_u32 v46, s0, 0x800, v60
	s_barrier
	buffer_gl0_inv
	v_fmamk_f32 v45, v50, 0x3f5db3d7, v29
	v_fmac_f32_e32 v29, 0xbf5db3d7, v50
	ds_write2_b64 v48, v[30:31], v[38:39] offset1:108
	ds_write_b64 v48, v[22:23] offset:1728
	ds_write2_b64 v51, v[32:33], v[40:41] offset1:108
	ds_write_b64 v51, v[20:21] offset:1728
	;; [unrolled: 2-line block ×4, first 2 shown]
	v_mul_lo_u16 v8, 0x144, v56
	v_lshrrev_b32_e32 v28, 23, v55
	v_add_co_ci_u32_e64 v47, s0, 0, v61, s0
	s_waitcnt lgkmcnt(0)
	v_sub_nc_u16 v44, v7, v8
	v_mul_lo_u16 v8, 0x144, v28
	s_barrier
	buffer_gl0_inv
	s_clause 0x1
	global_load_dwordx4 v[20:23], v[46:47], off offset:496
	global_load_dwordx4 v[24:27], v[24:25], off offset:496
	v_sub_nc_u16 v8, v6, v8
	v_lshlrev_b32_sdwa v19, v19, v44 dst_sel:DWORD dst_unused:UNUSED_PAD src0_sel:DWORD src1_sel:WORD_0
	v_lshlrev_b32_sdwa v44, v18, v44 dst_sel:DWORD dst_unused:UNUSED_PAD src0_sel:DWORD src1_sel:WORD_0
	v_and_b32_e32 v45, 0xffff, v8
	v_add_co_u32 v19, s0, s8, v19
	v_add_co_ci_u32_e64 v29, null, s9, 0, s0
	v_lshlrev_b32_e32 v8, 4, v45
	v_add_co_u32 v28, s0, 0x800, v19
	v_add_co_ci_u32_e64 v29, s0, 0, v29, s0
	v_add_co_u32 v8, s0, s8, v8
	v_add_co_ci_u32_e64 v19, null, s9, 0, s0
	global_load_dwordx4 v[28:31], v[28:29], off offset:496
	v_add_co_u32 v32, s0, 0x800, v8
	v_add_co_ci_u32_e64 v33, s0, 0, v19, s0
	v_cmp_lt_u32_e64 s0, 0x50, v0
	v_lshlrev_b32_e32 v19, 3, v58
	v_lshl_add_u32 v57, v45, 3, 0
	global_load_dwordx4 v[32:35], v[32:33], off offset:496
	ds_read2_b64 v[36:39], v3 offset0:12 offset1:255
	ds_read2_b64 v[40:43], v11 offset0:8 offset1:251
	v_cndmask_b32_e64 v8, 0, 0x1e60, s0
	v_add3_u32 v47, 0, v8, v19
	s_waitcnt vmcnt(3) lgkmcnt(1)
	v_mul_f32_e32 v46, v21, v37
	v_mul_f32_e32 v8, v21, v36
	s_waitcnt lgkmcnt(0)
	v_mul_f32_e32 v48, v23, v41
	v_mul_f32_e32 v19, v23, v40
	s_waitcnt vmcnt(2)
	v_mul_f32_e32 v49, v25, v39
	v_mul_f32_e32 v23, v25, v38
	v_fmac_f32_e32 v46, v20, v36
	v_fma_f32 v50, v20, v37, -v8
	v_fmac_f32_e32 v48, v22, v40
	v_fma_f32 v51, v22, v41, -v19
	ds_read2_b64 v[19:22], v10 offset0:2 offset1:245
	v_fmac_f32_e32 v49, v24, v38
	v_fma_f32 v52, v24, v39, -v23
	ds_read2_b64 v[36:39], v12 offset0:6 offset1:249
	v_lshlrev_b32_e32 v8, 1, v2
	v_mul_f32_e32 v53, v27, v43
	v_mul_f32_e32 v18, v27, v42
	v_add_co_u32 v23, s0, 0x1800, v60
	v_lshlrev_b64 v[40:41], 3, v[8:9]
	v_lshlrev_b32_e32 v8, 1, v7
	v_add_co_ci_u32_e64 v24, s0, 0, v61, s0
	v_fmac_f32_e32 v53, v26, v42
	v_fma_f32 v42, v26, v43, -v18
	v_add_co_u32 v54, s0, s8, v40
	v_lshlrev_b64 v[25:26], 3, v[8:9]
	v_mul_u32_u24_e32 v27, 0x1e60, v56
	v_add_co_ci_u32_e64 v55, s0, s9, v41, s0
	s_waitcnt vmcnt(1) lgkmcnt(1)
	v_mul_f32_e32 v43, v29, v20
	v_mul_f32_e32 v18, v29, v19
	s_waitcnt lgkmcnt(0)
	v_mul_f32_e32 v40, v37, v31
	v_mul_f32_e32 v29, v36, v31
	v_add_co_u32 v58, s0, s8, v25
	v_fma_f32 v41, v28, v20, -v18
	v_fmac_f32_e32 v40, v36, v30
	v_fma_f32 v36, v37, v30, -v29
	s_waitcnt vmcnt(0)
	v_mul_f32_e32 v37, v22, v33
	v_mul_f32_e32 v20, v21, v33
	v_fmac_f32_e32 v43, v28, v19
	ds_read_b64 v[18:19], v14
	v_add3_u32 v56, 0, v27, v44
	v_fmac_f32_e32 v37, v21, v32
	v_fma_f32 v22, v22, v32, -v20
	ds_read_b64 v[20:21], v15
	v_add_co_ci_u32_e64 v59, s0, s9, v26, s0
	ds_read_b64 v[25:26], v17
	ds_read_b64 v[27:28], v13
	v_mul_f32_e32 v44, v39, v35
	v_mul_f32_e32 v29, v38, v35
	v_add_f32_e32 v33, v46, v48
	v_lshlrev_b32_e32 v8, 1, v6
	v_sub_f32_e32 v45, v50, v51
	v_fmac_f32_e32 v44, v38, v34
	v_fma_f32 v38, v39, v34, -v29
	v_add_f32_e32 v39, v50, v51
	v_sub_f32_e32 v60, v52, v42
	s_waitcnt lgkmcnt(0)
	s_barrier
	v_add_f32_e32 v29, v18, v46
	v_add_f32_e32 v30, v19, v50
	v_sub_f32_e32 v46, v46, v48
	v_add_f32_e32 v50, v49, v53
	v_add_f32_e32 v34, v20, v43
	;; [unrolled: 1-line block ×7, first 2 shown]
	v_sub_f32_e32 v51, v41, v36
	v_add_f32_e32 v41, v41, v36
	v_fma_f32 v18, -0.5, v33, v18
	v_add_f32_e32 v32, v32, v42
	v_add_f32_e32 v42, v43, v40
	v_sub_f32_e32 v52, v43, v40
	v_add_f32_e32 v33, v34, v40
	v_fmac_f32_e32 v19, -0.5, v39
	v_add_f32_e32 v39, v37, v44
	v_fmac_f32_e32 v28, -0.5, v48
	v_sub_f32_e32 v48, v22, v38
	v_add_f32_e32 v40, v26, v22
	v_add_f32_e32 v22, v22, v38
	;; [unrolled: 1-line block ×3, first 2 shown]
	v_sub_f32_e32 v49, v49, v53
	v_add_f32_e32 v34, v35, v36
	v_lshlrev_b64 v[35:36], 3, v[8:9]
	v_add_f32_e32 v8, v25, v37
	v_fma_f32 v27, -0.5, v50, v27
	v_fma_f32 v20, -0.5, v42, v20
	v_fmac_f32_e32 v21, -0.5, v41
	v_sub_f32_e32 v50, v37, v44
	v_fma_f32 v25, -0.5, v39, v25
	v_fmac_f32_e32 v26, -0.5, v22
	v_add_f32_e32 v38, v40, v38
	v_fmamk_f32 v39, v45, 0xbf5db3d7, v18
	v_fmamk_f32 v40, v46, 0x3f5db3d7, v19
	v_fmac_f32_e32 v18, 0x3f5db3d7, v45
	v_fmac_f32_e32 v19, 0xbf5db3d7, v46
	v_add_f32_e32 v31, v31, v53
	v_add_co_u32 v22, s0, 0x1800, v54
	v_add_f32_e32 v37, v8, v44
	v_fmamk_f32 v41, v60, 0xbf5db3d7, v27
	v_fmamk_f32 v42, v49, 0x3f5db3d7, v28
	;; [unrolled: 1-line block ×3, first 2 shown]
	v_fmac_f32_e32 v20, 0x3f5db3d7, v51
	v_fmamk_f32 v44, v52, 0x3f5db3d7, v21
	v_fmac_f32_e32 v21, 0xbf5db3d7, v52
	buffer_gl0_inv
	v_fmac_f32_e32 v27, 0x3f5db3d7, v60
	v_fmac_f32_e32 v28, 0xbf5db3d7, v49
	v_fmamk_f32 v45, v48, 0xbf5db3d7, v25
	v_fmac_f32_e32 v25, 0x3f5db3d7, v48
	v_fmamk_f32 v46, v50, 0x3f5db3d7, v26
	v_fmac_f32_e32 v26, 0xbf5db3d7, v50
	ds_write_b64 v14, v[29:30]
	ds_write_b64 v14, v[39:40] offset:2592
	ds_write_b64 v14, v[18:19] offset:5184
	ds_write_b64 v47, v[31:32]
	ds_write_b64 v47, v[41:42] offset:2592
	ds_write_b64 v47, v[27:28] offset:5184
	;; [unrolled: 3-line block ×3, first 2 shown]
	ds_write_b64 v57, v[37:38] offset:15552
	ds_write_b64 v57, v[45:46] offset:18144
	;; [unrolled: 1-line block ×3, first 2 shown]
	s_waitcnt lgkmcnt(0)
	s_barrier
	buffer_gl0_inv
	global_load_dwordx4 v[18:21], v[23:24], off offset:1584
	v_add_co_ci_u32_e64 v23, s0, 0, v55, s0
	v_add_co_u32 v26, s0, 0x1800, v58
	v_add_co_ci_u32_e64 v27, s0, 0, v59, s0
	v_add_co_u32 v8, s0, s8, v35
	v_add_co_ci_u32_e64 v31, s0, s9, v36, s0
	s_clause 0x1
	global_load_dwordx4 v[22:25], v[22:23], off offset:1584
	global_load_dwordx4 v[26:29], v[26:27], off offset:1584
	v_add_co_u32 v30, s0, 0x1800, v8
	v_add_co_ci_u32_e64 v31, s0, 0, v31, s0
	global_load_dwordx4 v[30:33], v[30:31], off offset:1584
	ds_read2_b64 v[34:37], v3 offset0:12 offset1:255
	ds_read2_b64 v[38:41], v11 offset0:8 offset1:251
	ds_read_b64 v[50:51], v14
	ds_read_b64 v[52:53], v15
	ds_read2_b64 v[42:45], v10 offset0:2 offset1:245
	ds_read2_b64 v[46:49], v12 offset0:6 offset1:249
	ds_read_b64 v[10:11], v13
	ds_read_b64 v[54:55], v17
	s_waitcnt vmcnt(0) lgkmcnt(0)
	s_barrier
	buffer_gl0_inv
	v_mul_f32_e32 v3, v19, v35
	v_mul_f32_e32 v8, v19, v34
	;; [unrolled: 1-line block ×4, first 2 shown]
	v_fmac_f32_e32 v3, v18, v34
	v_fma_f32 v8, v18, v35, -v8
	v_fmac_f32_e32 v12, v20, v38
	v_fma_f32 v19, v20, v39, -v19
	v_mul_f32_e32 v18, v23, v37
	v_mul_f32_e32 v20, v23, v36
	;; [unrolled: 1-line block ×5, first 2 shown]
	v_fmac_f32_e32 v18, v22, v36
	v_fma_f32 v20, v22, v37, -v20
	v_mul_f32_e32 v22, v27, v43
	v_mul_f32_e32 v27, v47, v29
	;; [unrolled: 1-line block ×3, first 2 shown]
	v_fmac_f32_e32 v21, v24, v40
	v_fma_f32 v23, v24, v41, -v23
	v_mul_f32_e32 v24, v45, v31
	v_mul_f32_e32 v31, v44, v31
	v_mul_f32_e32 v34, v49, v33
	v_mul_f32_e32 v33, v48, v33
	v_fmac_f32_e32 v22, v26, v42
	v_fma_f32 v25, v26, v43, -v25
	v_fmac_f32_e32 v27, v46, v28
	v_fma_f32 v26, v47, v28, -v29
	;; [unrolled: 2-line block ×4, first 2 shown]
	v_add_f32_e32 v31, v3, v12
	v_sub_f32_e32 v32, v8, v19
	v_add_f32_e32 v33, v51, v8
	v_add_f32_e32 v8, v8, v19
	;; [unrolled: 1-line block ×6, first 2 shown]
	v_sub_f32_e32 v43, v25, v26
	v_add_f32_e32 v44, v53, v25
	v_add_f32_e32 v25, v25, v26
	;; [unrolled: 1-line block ×3, first 2 shown]
	v_sub_f32_e32 v48, v28, v29
	v_add_f32_e32 v49, v55, v28
	v_add_f32_e32 v28, v28, v29
	v_sub_f32_e32 v3, v3, v12
	v_add_f32_e32 v35, v10, v18
	v_add_f32_e32 v38, v11, v20
	;; [unrolled: 1-line block ×3, first 2 shown]
	v_fma_f32 v50, -0.5, v31, v50
	v_fmac_f32_e32 v51, -0.5, v8
	v_sub_f32_e32 v37, v20, v23
	v_sub_f32_e32 v40, v18, v21
	v_fma_f32 v10, -0.5, v36, v10
	v_fmac_f32_e32 v11, -0.5, v39
	v_sub_f32_e32 v45, v22, v27
	v_add_f32_e32 v46, v54, v24
	v_sub_f32_e32 v56, v24, v34
	v_add_f32_e32 v18, v30, v12
	v_add_f32_e32 v19, v33, v19
	v_fma_f32 v52, -0.5, v42, v52
	v_fmac_f32_e32 v53, -0.5, v25
	v_fma_f32 v54, -0.5, v47, v54
	v_fmac_f32_e32 v55, -0.5, v28
	v_add_f32_e32 v20, v35, v21
	v_add_f32_e32 v21, v38, v23
	;; [unrolled: 1-line block ×4, first 2 shown]
	v_fmamk_f32 v26, v32, 0xbf5db3d7, v50
	v_fmamk_f32 v27, v3, 0x3f5db3d7, v51
	v_fmac_f32_e32 v50, 0x3f5db3d7, v32
	v_fmac_f32_e32 v51, 0xbf5db3d7, v3
	v_add_f32_e32 v25, v49, v29
	v_fmamk_f32 v28, v37, 0xbf5db3d7, v10
	v_fmamk_f32 v29, v40, 0x3f5db3d7, v11
	v_add_f32_e32 v24, v46, v34
	v_fmac_f32_e32 v10, 0x3f5db3d7, v37
	v_fmac_f32_e32 v11, 0xbf5db3d7, v40
	v_fmamk_f32 v30, v43, 0xbf5db3d7, v52
	v_fmac_f32_e32 v52, 0x3f5db3d7, v43
	v_fmamk_f32 v31, v45, 0x3f5db3d7, v53
	;; [unrolled: 2-line block ×4, first 2 shown]
	v_fmac_f32_e32 v55, 0xbf5db3d7, v56
	ds_write_b64 v14, v[18:19]
	ds_write_b64 v14, v[26:27] offset:7776
	ds_write_b64 v14, v[50:51] offset:15552
	ds_write_b64 v13, v[20:21]
	ds_write_b64 v13, v[28:29] offset:7776
	ds_write_b64 v13, v[10:11] offset:15552
	;; [unrolled: 3-line block ×4, first 2 shown]
	s_waitcnt lgkmcnt(0)
	s_barrier
	buffer_gl0_inv
	ds_read_b64 v[12:13], v14
	v_sub_nc_u32_e32 v18, 0, v1
                                        ; implicit-def: $vgpr10
                                        ; implicit-def: $vgpr1
                                        ; implicit-def: $vgpr19
	v_cmpx_ne_u32_e32 0, v0
	s_xor_b32 s5, exec_lo, s5
	s_cbranch_execz .LBB0_15
; %bb.14:
	v_mov_b32_e32 v1, v9
	ds_read_b64 v[10:11], v18 offset:23328
	v_lshlrev_b64 v[8:9], 3, v[0:1]
	v_add_co_u32 v8, s0, s1, v8
	v_add_co_ci_u32_e64 v9, s0, s4, v9, s0
	global_load_dwordx2 v[8:9], v[8:9], off
	s_waitcnt lgkmcnt(0)
	v_sub_f32_e32 v1, v12, v10
	v_add_f32_e32 v3, v11, v13
	v_sub_f32_e32 v11, v13, v11
	v_add_f32_e32 v10, v10, v12
	v_mul_f32_e32 v13, 0.5, v1
	v_mul_f32_e32 v3, 0.5, v3
	;; [unrolled: 1-line block ×3, first 2 shown]
	s_waitcnt vmcnt(0)
	v_mul_f32_e32 v12, v9, v13
	v_fma_f32 v19, v3, v9, v11
	v_fma_f32 v9, v3, v9, -v11
	v_fma_f32 v1, 0.5, v10, v12
	v_fma_f32 v10, v10, 0.5, -v12
	v_fma_f32 v19, -v8, v13, v19
	v_fma_f32 v11, -v8, v13, v9
                                        ; implicit-def: $vgpr12_vgpr13
	v_fmac_f32_e32 v1, v8, v3
	v_fma_f32 v10, -v8, v3, v10
.LBB0_15:
	s_or_saveexec_b32 s0, s5
	v_mul_i32_i24_e32 v9, 0xffffffd8, v2
	s_xor_b32 exec_lo, exec_lo, s0
	s_cbranch_execz .LBB0_17
; %bb.16:
	v_mov_b32_e32 v19, 0
	s_waitcnt lgkmcnt(0)
	v_add_f32_e32 v1, v12, v13
	v_sub_f32_e32 v10, v12, v13
	v_mov_b32_e32 v11, 0
	ds_read_b32 v3, v19 offset:11668
	s_waitcnt lgkmcnt(0)
	v_xor_b32_e32 v3, 0x80000000, v3
	ds_write_b32 v19, v3 offset:11668
.LBB0_17:
	s_or_b32 exec_lo, exec_lo, s0
	v_mov_b32_e32 v3, 0
	v_add_nc_u32_e32 v16, v16, v9
	s_waitcnt lgkmcnt(0)
	v_lshlrev_b64 v[12:13], 3, v[2:3]
	v_mov_b32_e32 v8, v3
	v_add_nc_u32_e32 v2, 0x3cc, v0
	v_lshlrev_b64 v[7:8], 3, v[7:8]
	v_add_co_u32 v12, s0, s1, v12
	v_add_co_ci_u32_e64 v13, s0, s4, v13, s0
	v_lshlrev_b64 v[22:23], 3, v[2:3]
	v_add_co_u32 v7, s0, s1, v7
	global_load_dwordx2 v[12:13], v[12:13], off
	v_add_co_ci_u32_e64 v8, s0, s4, v8, s0
	v_add_nc_u32_e32 v2, 0x4bf, v0
	global_load_dwordx2 v[20:21], v[7:8], off
	v_mov_b32_e32 v7, v3
	v_lshlrev_b64 v[24:25], 3, v[2:3]
	v_lshlrev_b64 v[6:7], 3, v[6:7]
	v_add_co_u32 v6, s0, s1, v6
	v_add_co_ci_u32_e64 v7, s0, s4, v7, s0
	v_add_co_u32 v22, s0, s1, v22
	v_add_co_ci_u32_e64 v23, s0, s4, v23, s0
	;; [unrolled: 2-line block ×3, first 2 shown]
	s_clause 0x2
	global_load_dwordx2 v[22:23], v[22:23], off
	global_load_dwordx2 v[24:25], v[24:25], off
	;; [unrolled: 1-line block ×3, first 2 shown]
	ds_write2_b32 v14, v1, v19 offset1:1
	ds_write_b64 v18, v[10:11] offset:23328
	ds_read_b64 v[1:2], v16
	ds_read_b64 v[8:9], v18 offset:21384
	s_waitcnt lgkmcnt(0)
	v_sub_f32_e32 v10, v1, v8
	v_add_f32_e32 v11, v2, v9
	v_sub_f32_e32 v2, v2, v9
	v_add_f32_e32 v1, v1, v8
	v_mul_f32_e32 v9, 0.5, v10
	v_mul_f32_e32 v10, 0.5, v11
	;; [unrolled: 1-line block ×3, first 2 shown]
	s_waitcnt vmcnt(4)
	v_mul_f32_e32 v8, v13, v9
	v_fma_f32 v11, v10, v13, v2
	v_fma_f32 v2, v10, v13, -v2
	v_fma_f32 v13, 0.5, v1, v8
	v_fma_f32 v1, v1, 0.5, -v8
	v_fma_f32 v8, -v12, v9, v11
	v_fma_f32 v2, -v12, v9, v2
	v_fmac_f32_e32 v13, v12, v10
	v_fma_f32 v1, -v12, v10, v1
	ds_write_b32 v16, v8 offset:4
	ds_write_b32 v18, v2 offset:21388
	ds_write_b32 v16, v13
	ds_write_b32 v18, v1 offset:21384
	ds_read_b64 v[1:2], v15
	ds_read_b64 v[8:9], v18 offset:19440
	s_waitcnt lgkmcnt(0)
	v_sub_f32_e32 v10, v1, v8
	v_add_f32_e32 v11, v2, v9
	v_sub_f32_e32 v2, v2, v9
	v_add_f32_e32 v1, v1, v8
	v_mul_f32_e32 v9, 0.5, v10
	v_mul_f32_e32 v10, 0.5, v11
	;; [unrolled: 1-line block ×3, first 2 shown]
	s_waitcnt vmcnt(3)
	v_mul_f32_e32 v8, v21, v9
	v_fma_f32 v11, v10, v21, v2
	v_fma_f32 v2, v10, v21, -v2
	v_fma_f32 v12, 0.5, v1, v8
	v_fma_f32 v1, v1, 0.5, -v8
	v_fma_f32 v8, -v20, v9, v11
	v_fma_f32 v2, -v20, v9, v2
	v_fmac_f32_e32 v12, v20, v10
	v_fma_f32 v1, -v20, v10, v1
	ds_write2_b32 v15, v12, v8 offset1:1
	ds_write_b64 v18, v[1:2] offset:19440
	ds_read_b64 v[1:2], v17
	ds_read_b64 v[8:9], v18 offset:17496
	s_waitcnt lgkmcnt(0)
	v_sub_f32_e32 v10, v1, v8
	v_add_f32_e32 v11, v2, v9
	v_sub_f32_e32 v2, v2, v9
	v_add_f32_e32 v1, v1, v8
	v_mul_f32_e32 v9, 0.5, v10
	v_mul_f32_e32 v10, 0.5, v11
	;; [unrolled: 1-line block ×3, first 2 shown]
	s_waitcnt vmcnt(0)
	v_mul_f32_e32 v8, v7, v9
	v_fma_f32 v11, v10, v7, v2
	v_fma_f32 v2, v10, v7, -v2
	v_fma_f32 v7, 0.5, v1, v8
	v_fma_f32 v1, v1, 0.5, -v8
	v_fma_f32 v8, -v6, v9, v11
	v_fma_f32 v2, -v6, v9, v2
	v_fmac_f32_e32 v7, v6, v10
	v_fma_f32 v1, -v6, v10, v1
	ds_write2_b32 v17, v7, v8 offset1:1
	ds_write_b64 v18, v[1:2] offset:17496
	ds_read_b64 v[1:2], v14 offset:7776
	ds_read_b64 v[6:7], v18 offset:15552
	s_waitcnt lgkmcnt(0)
	v_sub_f32_e32 v8, v1, v6
	v_add_f32_e32 v9, v2, v7
	v_sub_f32_e32 v2, v2, v7
	v_add_f32_e32 v1, v1, v6
	v_mul_f32_e32 v7, 0.5, v8
	v_mul_f32_e32 v8, 0.5, v9
	;; [unrolled: 1-line block ×3, first 2 shown]
	v_mul_f32_e32 v6, v23, v7
	v_fma_f32 v9, v8, v23, v2
	v_fma_f32 v2, v8, v23, -v2
	v_fma_f32 v10, 0.5, v1, v6
	v_fma_f32 v1, v1, 0.5, -v6
	v_add_nc_u32_e32 v6, 0x1c00, v14
	v_fma_f32 v9, -v22, v7, v9
	v_fma_f32 v2, -v22, v7, v2
	v_fmac_f32_e32 v10, v22, v8
	v_fma_f32 v1, -v22, v8, v1
	ds_write2_b32 v6, v10, v9 offset0:152 offset1:153
	ds_write_b64 v18, v[1:2] offset:15552
	ds_read_b64 v[1:2], v14 offset:9720
	ds_read_b64 v[6:7], v18 offset:13608
	s_waitcnt lgkmcnt(0)
	v_sub_f32_e32 v8, v1, v6
	v_add_f32_e32 v9, v2, v7
	v_sub_f32_e32 v2, v2, v7
	v_add_f32_e32 v1, v1, v6
	v_mul_f32_e32 v7, 0.5, v8
	v_mul_f32_e32 v8, 0.5, v9
	;; [unrolled: 1-line block ×3, first 2 shown]
	v_mul_f32_e32 v6, v25, v7
	v_fma_f32 v9, v8, v25, v2
	v_fma_f32 v2, v8, v25, -v2
	v_fma_f32 v10, 0.5, v1, v6
	v_fma_f32 v1, v1, 0.5, -v6
	v_add_nc_u32_e32 v6, 0x2400, v14
	v_fma_f32 v9, -v24, v7, v9
	v_fma_f32 v2, -v24, v7, v2
	v_fmac_f32_e32 v10, v24, v8
	v_fma_f32 v1, -v24, v8, v1
	ds_write2_b32 v6, v10, v9 offset0:126 offset1:127
	ds_write_b64 v18, v[1:2] offset:13608
	s_waitcnt lgkmcnt(0)
	s_barrier
	buffer_gl0_inv
	s_and_saveexec_b32 s0, vcc_lo
	s_cbranch_execz .LBB0_20
; %bb.18:
	ds_read2_b64 v[6:9], v14 offset1:243
	v_mov_b32_e32 v1, v3
	v_add_nc_u32_e32 v3, 0xf00, v14
	v_add_nc_u32_e32 v15, 0x1e00, v14
	ds_read2_b64 v[10:13], v3 offset0:6 offset1:249
	ds_read2_b64 v[15:18], v15 offset0:12 offset1:255
	v_lshlrev_b64 v[19:20], 3, v[0:1]
	v_add_co_u32 v1, vcc_lo, s2, v4
	v_add_co_ci_u32_e32 v2, vcc_lo, s3, v5, vcc_lo
	v_add_nc_u32_e32 v3, 0x2d80, v14
	v_add_co_u32 v19, vcc_lo, v1, v19
	v_add_co_ci_u32_e32 v20, vcc_lo, v2, v20, vcc_lo
	v_add_co_u32 v21, vcc_lo, 0x800, v19
	s_waitcnt lgkmcnt(2)
	global_store_dwordx2 v[19:20], v[6:7], off
	ds_read2_b64 v[3:6], v3 offset0:2 offset1:245
	v_add_co_ci_u32_e32 v22, vcc_lo, 0, v20, vcc_lo
	v_add_co_u32 v23, vcc_lo, 0x1000, v19
	v_add_co_ci_u32_e32 v24, vcc_lo, 0, v20, vcc_lo
	v_add_co_u32 v25, vcc_lo, 0x1800, v19
	;; [unrolled: 2-line block ×3, first 2 shown]
	global_store_dwordx2 v[19:20], v[8:9], off offset:1944
	s_waitcnt lgkmcnt(2)
	global_store_dwordx2 v[21:22], v[10:11], off offset:1840
	global_store_dwordx2 v[23:24], v[12:13], off offset:1736
	s_waitcnt lgkmcnt(1)
	global_store_dwordx2 v[25:26], v[15:16], off offset:1632
	v_add_co_ci_u32_e32 v8, vcc_lo, 0, v20, vcc_lo
	v_add_co_u32 v9, vcc_lo, 0x2800, v19
	v_add_co_ci_u32_e32 v10, vcc_lo, 0, v20, vcc_lo
	v_add_nc_u32_e32 v13, 0x3c80, v14
	v_add_co_u32 v11, vcc_lo, 0x3000, v19
	v_add_co_ci_u32_e32 v12, vcc_lo, 0, v20, vcc_lo
	v_add_nc_u32_e32 v14, 0x4bc0, v14
	global_store_dwordx2 v[7:8], v[17:18], off offset:1528
	s_waitcnt lgkmcnt(0)
	global_store_dwordx2 v[9:10], v[3:4], off offset:1424
	ds_read2_b64 v[7:10], v13 offset0:8 offset1:251
	global_store_dwordx2 v[11:12], v[5:6], off offset:1320
	v_add_co_u32 v11, vcc_lo, 0x3800, v19
	ds_read2_b64 v[3:6], v14 offset0:6 offset1:249
	v_add_co_ci_u32_e32 v12, vcc_lo, 0, v20, vcc_lo
	v_add_co_u32 v13, vcc_lo, 0x4000, v19
	v_add_co_ci_u32_e32 v14, vcc_lo, 0, v20, vcc_lo
	v_add_co_u32 v15, vcc_lo, 0x4800, v19
	;; [unrolled: 2-line block ×3, first 2 shown]
	v_add_co_ci_u32_e32 v18, vcc_lo, 0, v20, vcc_lo
	v_cmp_eq_u32_e32 vcc_lo, 0xf2, v0
	s_waitcnt lgkmcnt(1)
	global_store_dwordx2 v[11:12], v[7:8], off offset:1216
	global_store_dwordx2 v[13:14], v[9:10], off offset:1112
	s_waitcnt lgkmcnt(0)
	global_store_dwordx2 v[15:16], v[3:4], off offset:1008
	global_store_dwordx2 v[17:18], v[5:6], off offset:904
	s_and_b32 exec_lo, exec_lo, vcc_lo
	s_cbranch_execz .LBB0_20
; %bb.19:
	v_mov_b32_e32 v0, 0
	ds_read_b64 v[3:4], v0 offset:23328
	v_add_co_u32 v0, vcc_lo, 0x5800, v1
	v_add_co_ci_u32_e32 v1, vcc_lo, 0, v2, vcc_lo
	s_waitcnt lgkmcnt(0)
	global_store_dwordx2 v[0:1], v[3:4], off offset:800
.LBB0_20:
	s_endpgm
	.section	.rodata,"a",@progbits
	.p2align	6, 0x0
	.amdhsa_kernel fft_rtc_back_len2916_factors_6_6_3_3_3_3_wgs_243_tpt_243_halfLds_sp_ip_CI_unitstride_sbrr_R2C_dirReg
		.amdhsa_group_segment_fixed_size 0
		.amdhsa_private_segment_fixed_size 0
		.amdhsa_kernarg_size 88
		.amdhsa_user_sgpr_count 6
		.amdhsa_user_sgpr_private_segment_buffer 1
		.amdhsa_user_sgpr_dispatch_ptr 0
		.amdhsa_user_sgpr_queue_ptr 0
		.amdhsa_user_sgpr_kernarg_segment_ptr 1
		.amdhsa_user_sgpr_dispatch_id 0
		.amdhsa_user_sgpr_flat_scratch_init 0
		.amdhsa_user_sgpr_private_segment_size 0
		.amdhsa_wavefront_size32 1
		.amdhsa_uses_dynamic_stack 0
		.amdhsa_system_sgpr_private_segment_wavefront_offset 0
		.amdhsa_system_sgpr_workgroup_id_x 1
		.amdhsa_system_sgpr_workgroup_id_y 0
		.amdhsa_system_sgpr_workgroup_id_z 0
		.amdhsa_system_sgpr_workgroup_info 0
		.amdhsa_system_vgpr_workitem_id 0
		.amdhsa_next_free_vgpr 63
		.amdhsa_next_free_sgpr 21
		.amdhsa_reserve_vcc 1
		.amdhsa_reserve_flat_scratch 0
		.amdhsa_float_round_mode_32 0
		.amdhsa_float_round_mode_16_64 0
		.amdhsa_float_denorm_mode_32 3
		.amdhsa_float_denorm_mode_16_64 3
		.amdhsa_dx10_clamp 1
		.amdhsa_ieee_mode 1
		.amdhsa_fp16_overflow 0
		.amdhsa_workgroup_processor_mode 1
		.amdhsa_memory_ordered 1
		.amdhsa_forward_progress 0
		.amdhsa_shared_vgpr_count 0
		.amdhsa_exception_fp_ieee_invalid_op 0
		.amdhsa_exception_fp_denorm_src 0
		.amdhsa_exception_fp_ieee_div_zero 0
		.amdhsa_exception_fp_ieee_overflow 0
		.amdhsa_exception_fp_ieee_underflow 0
		.amdhsa_exception_fp_ieee_inexact 0
		.amdhsa_exception_int_div_zero 0
	.end_amdhsa_kernel
	.text
.Lfunc_end0:
	.size	fft_rtc_back_len2916_factors_6_6_3_3_3_3_wgs_243_tpt_243_halfLds_sp_ip_CI_unitstride_sbrr_R2C_dirReg, .Lfunc_end0-fft_rtc_back_len2916_factors_6_6_3_3_3_3_wgs_243_tpt_243_halfLds_sp_ip_CI_unitstride_sbrr_R2C_dirReg
                                        ; -- End function
	.section	.AMDGPU.csdata,"",@progbits
; Kernel info:
; codeLenInByte = 9068
; NumSgprs: 23
; NumVgprs: 63
; ScratchSize: 0
; MemoryBound: 0
; FloatMode: 240
; IeeeMode: 1
; LDSByteSize: 0 bytes/workgroup (compile time only)
; SGPRBlocks: 2
; VGPRBlocks: 7
; NumSGPRsForWavesPerEU: 23
; NumVGPRsForWavesPerEU: 63
; Occupancy: 16
; WaveLimiterHint : 1
; COMPUTE_PGM_RSRC2:SCRATCH_EN: 0
; COMPUTE_PGM_RSRC2:USER_SGPR: 6
; COMPUTE_PGM_RSRC2:TRAP_HANDLER: 0
; COMPUTE_PGM_RSRC2:TGID_X_EN: 1
; COMPUTE_PGM_RSRC2:TGID_Y_EN: 0
; COMPUTE_PGM_RSRC2:TGID_Z_EN: 0
; COMPUTE_PGM_RSRC2:TIDIG_COMP_CNT: 0
	.text
	.p2alignl 6, 3214868480
	.fill 48, 4, 3214868480
	.type	__hip_cuid_ae09e75c275fe808,@object ; @__hip_cuid_ae09e75c275fe808
	.section	.bss,"aw",@nobits
	.globl	__hip_cuid_ae09e75c275fe808
__hip_cuid_ae09e75c275fe808:
	.byte	0                               ; 0x0
	.size	__hip_cuid_ae09e75c275fe808, 1

	.ident	"AMD clang version 19.0.0git (https://github.com/RadeonOpenCompute/llvm-project roc-6.4.0 25133 c7fe45cf4b819c5991fe208aaa96edf142730f1d)"
	.section	".note.GNU-stack","",@progbits
	.addrsig
	.addrsig_sym __hip_cuid_ae09e75c275fe808
	.amdgpu_metadata
---
amdhsa.kernels:
  - .args:
      - .actual_access:  read_only
        .address_space:  global
        .offset:         0
        .size:           8
        .value_kind:     global_buffer
      - .offset:         8
        .size:           8
        .value_kind:     by_value
      - .actual_access:  read_only
        .address_space:  global
        .offset:         16
        .size:           8
        .value_kind:     global_buffer
      - .actual_access:  read_only
        .address_space:  global
        .offset:         24
        .size:           8
        .value_kind:     global_buffer
      - .offset:         32
        .size:           8
        .value_kind:     by_value
      - .actual_access:  read_only
        .address_space:  global
        .offset:         40
        .size:           8
        .value_kind:     global_buffer
      - .actual_access:  read_only
        .address_space:  global
        .offset:         48
        .size:           8
        .value_kind:     global_buffer
      - .offset:         56
        .size:           4
        .value_kind:     by_value
      - .actual_access:  read_only
        .address_space:  global
        .offset:         64
        .size:           8
        .value_kind:     global_buffer
      - .actual_access:  read_only
        .address_space:  global
        .offset:         72
        .size:           8
        .value_kind:     global_buffer
      - .address_space:  global
        .offset:         80
        .size:           8
        .value_kind:     global_buffer
    .group_segment_fixed_size: 0
    .kernarg_segment_align: 8
    .kernarg_segment_size: 88
    .language:       OpenCL C
    .language_version:
      - 2
      - 0
    .max_flat_workgroup_size: 243
    .name:           fft_rtc_back_len2916_factors_6_6_3_3_3_3_wgs_243_tpt_243_halfLds_sp_ip_CI_unitstride_sbrr_R2C_dirReg
    .private_segment_fixed_size: 0
    .sgpr_count:     23
    .sgpr_spill_count: 0
    .symbol:         fft_rtc_back_len2916_factors_6_6_3_3_3_3_wgs_243_tpt_243_halfLds_sp_ip_CI_unitstride_sbrr_R2C_dirReg.kd
    .uniform_work_group_size: 1
    .uses_dynamic_stack: false
    .vgpr_count:     63
    .vgpr_spill_count: 0
    .wavefront_size: 32
    .workgroup_processor_mode: 1
amdhsa.target:   amdgcn-amd-amdhsa--gfx1030
amdhsa.version:
  - 1
  - 2
...

	.end_amdgpu_metadata
